;; amdgpu-corpus repo=ROCm/rocFFT kind=compiled arch=gfx906 opt=O3
	.text
	.amdgcn_target "amdgcn-amd-amdhsa--gfx906"
	.amdhsa_code_object_version 6
	.protected	bluestein_single_back_len49_dim1_dp_op_CI_CI ; -- Begin function bluestein_single_back_len49_dim1_dp_op_CI_CI
	.globl	bluestein_single_back_len49_dim1_dp_op_CI_CI
	.p2align	8
	.type	bluestein_single_back_len49_dim1_dp_op_CI_CI,@function
bluestein_single_back_len49_dim1_dp_op_CI_CI: ; @bluestein_single_back_len49_dim1_dp_op_CI_CI
; %bb.0:
	v_mul_u32_u24_e32 v1, 0x2493, v0
	s_load_dwordx4 s[12:15], s[4:5], 0x28
	v_lshrrev_b32_e32 v1, 16, v1
	v_mad_u64_u32 v[52:53], s[0:1], s6, 9, v[1:2]
	v_mov_b32_e32 v53, 0
	s_waitcnt lgkmcnt(0)
	v_cmp_gt_u64_e32 vcc, s[12:13], v[52:53]
	s_and_saveexec_b64 s[0:1], vcc
	s_cbranch_execz .LBB0_2
; %bb.1:
	s_load_dwordx4 s[0:3], s[4:5], 0x18
	s_load_dwordx4 s[8:11], s[4:5], 0x0
	v_mul_lo_u16_e32 v1, 7, v1
	v_sub_u16_e32 v53, v0, v1
	v_mov_b32_e32 v7, s15
	s_waitcnt lgkmcnt(0)
	s_load_dwordx4 s[16:19], s[0:1], 0x0
	s_add_u32 s34, s8, 0x310
	s_addc_u32 s35, s9, 0
	v_lshlrev_b32_e32 v55, 4, v53
	s_mov_b32 s12, 0x37e14327
	s_waitcnt lgkmcnt(0)
	v_mad_u64_u32 v[0:1], s[0:1], s18, v52, 0
	v_mad_u64_u32 v[2:3], s[0:1], s16, v53, 0
	s_mov_b32 s6, 0x36b3c0b5
	s_mov_b32 s13, 0x3fe948f6
	v_mad_u64_u32 v[4:5], s[0:1], s19, v52, v[1:2]
	s_mov_b32 s7, 0x3fac98ee
	s_mov_b32 s18, 0x429ad128
	v_mad_u64_u32 v[5:6], s[0:1], s17, v53, v[3:4]
	v_mov_b32_e32 v1, v4
	v_lshlrev_b64 v[0:1], 4, v[0:1]
	v_mov_b32_e32 v3, v5
	v_add_co_u32_e32 v4, vcc, s14, v0
	v_addc_co_u32_e32 v5, vcc, v7, v1, vcc
	v_lshlrev_b64 v[0:1], 4, v[2:3]
	s_mul_i32 s0, s17, 0x70
	v_add_co_u32_e32 v0, vcc, v4, v0
	s_mul_hi_u32 s1, s16, 0x70
	v_addc_co_u32_e32 v1, vcc, v5, v1, vcc
	s_add_i32 s0, s1, s0
	s_mul_i32 s1, s16, 0x70
	global_load_dwordx4 v[28:31], v[0:1], off
	v_mov_b32_e32 v2, s0
	v_add_co_u32_e32 v0, vcc, s1, v0
	v_addc_co_u32_e32 v1, vcc, v1, v2, vcc
	v_mov_b32_e32 v3, s0
	v_add_co_u32_e32 v2, vcc, s1, v0
	v_addc_co_u32_e32 v3, vcc, v1, v3, vcc
	global_load_dwordx4 v[24:27], v55, s[8:9]
	global_load_dwordx4 v[12:15], v55, s[8:9] offset:112
	global_load_dwordx4 v[32:35], v[0:1], off
	global_load_dwordx4 v[36:39], v[2:3], off
	v_mov_b32_e32 v1, s0
	v_add_co_u32_e32 v0, vcc, s1, v2
	v_addc_co_u32_e32 v1, vcc, v3, v1, vcc
	v_mov_b32_e32 v3, s0
	v_add_co_u32_e32 v2, vcc, s1, v0
	v_addc_co_u32_e32 v3, vcc, v1, v3, vcc
	global_load_dwordx4 v[16:19], v55, s[8:9] offset:224
	global_load_dwordx4 v[4:7], v55, s[8:9] offset:336
	global_load_dwordx4 v[40:43], v[0:1], off
	global_load_dwordx4 v[44:47], v[2:3], off
	v_mov_b32_e32 v0, s0
	v_add_co_u32_e32 v8, vcc, s1, v2
	v_addc_co_u32_e32 v9, vcc, v3, v0, vcc
	global_load_dwordx4 v[48:51], v[8:9], off
	global_load_dwordx4 v[20:23], v55, s[8:9] offset:448
	global_load_dwordx4 v[0:3], v55, s[8:9] offset:560
	v_mov_b32_e32 v10, s0
	v_add_co_u32_e32 v60, vcc, s1, v8
	v_addc_co_u32_e32 v61, vcc, v9, v10, vcc
	global_load_dwordx4 v[8:11], v55, s[8:9] offset:672
	global_load_dwordx4 v[56:59], v[60:61], off
	s_mov_b32 s0, 0x38e38e39
	v_mul_hi_u32 v54, v52, s0
	s_load_dwordx4 s[0:3], s[2:3], 0x0
	s_mov_b32 s14, 0x5476071b
	s_mov_b32 s15, 0x3fe77f67
	v_lshrrev_b32_e32 v54, 1, v54
	v_lshl_add_u32 v54, v54, 3, v54
	v_sub_u32_e32 v54, v52, v54
	v_mul_u32_u24_e32 v54, 49, v54
	v_lshlrev_b32_e32 v88, 4, v54
	v_add_u32_e32 v54, v55, v88
	s_mov_b32 s17, 0xbfe77f67
	s_mov_b32 s16, s14
	;; [unrolled: 1-line block ×15, first 2 shown]
	s_load_dwordx2 s[4:5], s[4:5], 0x38
	s_waitcnt vmcnt(12)
	v_mul_f64 v[60:61], v[30:31], v[26:27]
	v_mul_f64 v[62:63], v[28:29], v[26:27]
	s_waitcnt vmcnt(10)
	v_mul_f64 v[64:65], v[34:35], v[14:15]
	v_mul_f64 v[66:67], v[32:33], v[14:15]
	v_fma_f64 v[28:29], v[28:29], v[24:25], v[60:61]
	v_fma_f64 v[30:31], v[30:31], v[24:25], -v[62:63]
	v_fma_f64 v[32:33], v[32:33], v[12:13], v[64:65]
	v_fma_f64 v[34:35], v[34:35], v[12:13], -v[66:67]
	s_waitcnt vmcnt(8)
	v_mul_f64 v[68:69], v[38:39], v[18:19]
	v_mul_f64 v[70:71], v[36:37], v[18:19]
	s_waitcnt vmcnt(6)
	v_mul_f64 v[72:73], v[42:43], v[6:7]
	v_mul_f64 v[74:75], v[40:41], v[6:7]
	;; [unrolled: 3-line block ×4, first 2 shown]
	v_fma_f64 v[36:37], v[36:37], v[16:17], v[68:69]
	v_fma_f64 v[38:39], v[38:39], v[16:17], -v[70:71]
	v_fma_f64 v[40:41], v[40:41], v[4:5], v[72:73]
	s_waitcnt vmcnt(0)
	v_mul_f64 v[84:85], v[58:59], v[10:11]
	v_mul_f64 v[86:87], v[56:57], v[10:11]
	v_fma_f64 v[42:43], v[42:43], v[4:5], -v[74:75]
	v_fma_f64 v[44:45], v[44:45], v[20:21], v[76:77]
	v_fma_f64 v[46:47], v[46:47], v[20:21], -v[78:79]
	v_fma_f64 v[48:49], v[48:49], v[0:1], v[80:81]
	;; [unrolled: 2-line block ×3, first 2 shown]
	v_fma_f64 v[58:59], v[58:59], v[8:9], -v[86:87]
	ds_write_b128 v54, v[28:31]
	ds_write_b128 v54, v[32:35] offset:112
	ds_write_b128 v54, v[36:39] offset:224
	;; [unrolled: 1-line block ×6, first 2 shown]
	s_waitcnt lgkmcnt(0)
	; wave barrier
	s_waitcnt lgkmcnt(0)
	ds_read_b128 v[28:31], v54 offset:112
	ds_read_b128 v[32:35], v54 offset:672
	;; [unrolled: 1-line block ×6, first 2 shown]
	ds_read_b128 v[56:59], v54
	s_waitcnt lgkmcnt(5)
	v_add_f64 v[60:61], v[28:29], v[32:33]
	v_add_f64 v[62:63], v[30:31], v[34:35]
	s_waitcnt lgkmcnt(2)
	v_add_f64 v[64:65], v[36:37], v[44:45]
	v_add_f64 v[66:67], v[38:39], v[46:47]
	v_add_f64 v[32:33], v[28:29], -v[32:33]
	s_waitcnt lgkmcnt(1)
	v_add_f64 v[28:29], v[40:41], v[48:49]
	v_add_f64 v[68:69], v[42:43], v[50:51]
	v_add_f64 v[36:37], v[36:37], -v[44:45]
	v_add_f64 v[40:41], v[48:49], -v[40:41]
	;; [unrolled: 1-line block ×3, first 2 shown]
	v_add_f64 v[70:71], v[64:65], v[60:61]
	v_add_f64 v[72:73], v[66:67], v[62:63]
	v_add_f64 v[42:43], v[50:51], -v[42:43]
	v_add_f64 v[44:45], v[64:65], -v[60:61]
	;; [unrolled: 1-line block ×6, first 2 shown]
	v_add_f64 v[46:47], v[28:29], v[70:71]
	v_add_f64 v[48:49], v[68:69], v[72:73]
	;; [unrolled: 1-line block ×3, first 2 shown]
	v_add_f64 v[62:63], v[62:63], -v[68:69]
	v_add_f64 v[66:67], v[68:69], -v[66:67]
	v_mul_f64 v[60:61], v[60:61], s[12:13]
	v_add_f64 v[68:69], v[42:43], -v[38:39]
	s_waitcnt lgkmcnt(0)
	v_add_f64 v[28:29], v[56:57], v[46:47]
	v_add_f64 v[30:31], v[58:59], v[48:49]
	;; [unrolled: 1-line block ×3, first 2 shown]
	v_add_f64 v[58:59], v[40:41], -v[36:37]
	v_add_f64 v[40:41], v[32:33], -v[40:41]
	;; [unrolled: 1-line block ×3, first 2 shown]
	v_add_f64 v[32:33], v[70:71], v[32:33]
	v_mul_f64 v[70:71], v[64:65], s[6:7]
	v_add_f64 v[42:43], v[34:35], -v[42:43]
	v_add_f64 v[38:39], v[38:39], -v[34:35]
	v_add_f64 v[34:35], v[56:57], v[34:35]
	v_mul_f64 v[56:57], v[62:63], s[12:13]
	v_fma_f64 v[62:63], v[64:65], s[6:7], v[60:61]
	v_mul_f64 v[58:59], v[58:59], s[22:23]
	v_mul_f64 v[68:69], v[68:69], s[22:23]
	v_fma_f64 v[64:65], v[44:45], s[14:15], -v[70:71]
	v_fma_f64 v[44:45], v[44:45], s[16:17], -v[60:61]
	v_mul_f64 v[60:61], v[66:67], s[6:7]
	v_mul_f64 v[70:71], v[38:39], s[18:19]
	v_fma_f64 v[66:67], v[66:67], s[6:7], v[56:57]
	v_fma_f64 v[46:47], v[46:47], s[30:31], v[28:29]
	;; [unrolled: 1-line block ×3, first 2 shown]
	v_fma_f64 v[38:39], v[38:39], s[24:25], -v[68:69]
	; wave barrier
	v_fma_f64 v[60:61], v[50:51], s[14:15], -v[60:61]
	v_fma_f64 v[50:51], v[50:51], s[16:17], -v[56:57]
	v_mul_f64 v[56:57], v[36:37], s[18:19]
	v_fma_f64 v[36:37], v[36:37], s[24:25], -v[58:59]
	v_fma_f64 v[58:59], v[40:41], s[20:21], v[58:59]
	v_add_f64 v[62:63], v[62:63], v[46:47]
	v_add_f64 v[66:67], v[66:67], v[48:49]
	v_add_f64 v[72:73], v[44:45], v[46:47]
	v_add_f64 v[60:61], v[60:61], v[48:49]
	v_add_f64 v[50:51], v[50:51], v[48:49]
	v_fma_f64 v[40:41], v[40:41], s[28:29], v[56:57]
	v_fma_f64 v[56:57], v[42:43], s[20:21], v[68:69]
	;; [unrolled: 1-line block ×4, first 2 shown]
	v_add_f64 v[64:65], v[64:65], v[46:47]
	v_fma_f64 v[58:59], v[34:35], s[26:27], v[38:39]
	v_fma_f64 v[70:71], v[32:33], s[26:27], v[36:37]
	;; [unrolled: 1-line block ×5, first 2 shown]
	v_add_f64 v[34:35], v[66:67], -v[68:69]
	v_add_f64 v[36:37], v[64:65], -v[58:59]
	v_add_f64 v[38:39], v[70:71], v[60:61]
	v_add_f64 v[40:41], v[64:65], v[58:59]
	v_add_f64 v[46:47], v[50:51], -v[74:75]
	v_add_f64 v[32:33], v[62:63], v[56:57]
	v_add_f64 v[44:45], v[72:73], v[48:49]
	v_add_f64 v[42:43], v[60:61], -v[70:71]
	v_add_f64 v[48:49], v[72:73], -v[48:49]
	v_add_f64 v[50:51], v[74:75], v[50:51]
	v_add_f64 v[57:58], v[62:63], -v[56:57]
	v_add_f64 v[59:60], v[68:69], v[66:67]
	v_mul_lo_u16_e32 v56, 7, v53
	v_lshl_add_u32 v56, v56, 4, v88
	ds_write_b128 v56, v[28:31]
	ds_write_b128 v56, v[32:35] offset:16
	ds_write_b128 v56, v[44:47] offset:32
	;; [unrolled: 1-line block ×6, first 2 shown]
	v_mul_u32_u24_e32 v28, 6, v53
	v_lshlrev_b32_e32 v57, 4, v28
	s_waitcnt lgkmcnt(0)
	; wave barrier
	s_waitcnt lgkmcnt(0)
	global_load_dwordx4 v[36:39], v57, s[10:11]
	global_load_dwordx4 v[32:35], v57, s[10:11] offset:16
	global_load_dwordx4 v[28:31], v57, s[10:11] offset:32
	;; [unrolled: 1-line block ×5, first 2 shown]
	ds_read_b128 v[57:60], v54 offset:112
	ds_read_b128 v[61:64], v54 offset:224
	;; [unrolled: 1-line block ×6, first 2 shown]
	ds_read_b128 v[81:84], v54
	s_waitcnt vmcnt(5) lgkmcnt(6)
	v_mul_f64 v[85:86], v[59:60], v[38:39]
	v_mul_f64 v[87:88], v[57:58], v[38:39]
	s_waitcnt vmcnt(4) lgkmcnt(5)
	v_mul_f64 v[89:90], v[63:64], v[34:35]
	s_waitcnt vmcnt(2) lgkmcnt(2)
	;; [unrolled: 2-line block ×3, first 2 shown]
	v_mul_f64 v[101:102], v[79:80], v[50:51]
	v_mul_f64 v[91:92], v[61:62], v[34:35]
	;; [unrolled: 1-line block ×5, first 2 shown]
	v_fma_f64 v[57:58], v[57:58], v[36:37], -v[85:86]
	v_fma_f64 v[59:60], v[59:60], v[36:37], v[87:88]
	v_fma_f64 v[61:62], v[61:62], v[32:33], -v[89:90]
	s_waitcnt vmcnt(0)
	v_mul_f64 v[85:86], v[71:72], v[46:47]
	v_mul_f64 v[87:88], v[69:70], v[46:47]
	v_fma_f64 v[77:78], v[77:78], v[48:49], -v[101:102]
	v_fma_f64 v[73:74], v[73:74], v[40:41], -v[97:98]
	v_mul_f64 v[95:96], v[65:66], v[30:31]
	v_fma_f64 v[63:64], v[63:64], v[32:33], v[91:92]
	v_fma_f64 v[79:80], v[79:80], v[48:49], v[103:104]
	;; [unrolled: 1-line block ×3, first 2 shown]
	v_fma_f64 v[65:66], v[65:66], v[28:29], -v[93:94]
	v_fma_f64 v[69:70], v[69:70], v[44:45], -v[85:86]
	v_fma_f64 v[71:72], v[71:72], v[44:45], v[87:88]
	v_add_f64 v[85:86], v[57:58], v[77:78]
	v_add_f64 v[87:88], v[61:62], v[73:74]
	v_fma_f64 v[67:68], v[67:68], v[28:29], v[95:96]
	v_add_f64 v[89:90], v[59:60], v[79:80]
	v_add_f64 v[91:92], v[63:64], v[75:76]
	v_add_f64 v[61:62], v[61:62], -v[73:74]
	v_add_f64 v[93:94], v[65:66], v[69:70]
	v_add_f64 v[63:64], v[63:64], -v[75:76]
	v_add_f64 v[65:66], v[69:70], -v[65:66]
	v_add_f64 v[95:96], v[87:88], v[85:86]
	v_add_f64 v[97:98], v[67:68], v[71:72]
	v_add_f64 v[67:68], v[71:72], -v[67:68]
	v_add_f64 v[99:100], v[91:92], v[89:90]
	v_add_f64 v[69:70], v[59:60], -v[79:80]
	v_add_f64 v[77:78], v[57:58], -v[77:78]
	;; [unrolled: 1-line block ×4, first 2 shown]
	v_add_f64 v[73:74], v[93:94], v[95:96]
	v_add_f64 v[87:88], v[91:92], -v[89:90]
	v_add_f64 v[101:102], v[67:68], v[63:64]
	v_add_f64 v[79:80], v[97:98], v[99:100]
	v_add_f64 v[85:86], v[85:86], -v[93:94]
	v_add_f64 v[89:90], v[89:90], -v[97:98]
	v_add_f64 v[95:96], v[65:66], v[61:62]
	v_mul_f64 v[99:100], v[75:76], s[6:7]
	s_waitcnt lgkmcnt(0)
	v_add_f64 v[57:58], v[81:82], v[73:74]
	v_add_f64 v[81:82], v[97:98], -v[91:92]
	v_add_f64 v[91:92], v[67:68], -v[63:64]
	v_add_f64 v[59:60], v[83:84], v[79:80]
	v_add_f64 v[83:84], v[65:66], -v[61:62]
	v_add_f64 v[63:64], v[63:64], -v[69:70]
	;; [unrolled: 1-line block ×3, first 2 shown]
	v_add_f64 v[101:102], v[101:102], v[69:70]
	v_add_f64 v[67:68], v[69:70], -v[67:68]
	v_mul_f64 v[103:104], v[81:82], s[6:7]
	v_mul_f64 v[91:92], v[91:92], s[22:23]
	;; [unrolled: 1-line block ×5, first 2 shown]
	v_add_f64 v[65:66], v[77:78], -v[65:66]
	v_add_f64 v[95:96], v[95:96], v[77:78]
	v_fma_f64 v[73:74], v[73:74], s[30:31], v[57:58]
	v_fma_f64 v[93:94], v[87:88], s[14:15], -v[103:104]
	v_fma_f64 v[103:104], v[63:64], s[24:25], -v[91:92]
	v_mul_f64 v[63:64], v[63:64], s[18:19]
	v_fma_f64 v[97:98], v[61:62], s[24:25], -v[83:84]
	v_mul_f64 v[61:62], v[61:62], s[18:19]
	v_fma_f64 v[99:100], v[71:72], s[14:15], -v[99:100]
	v_fma_f64 v[79:80], v[79:80], s[30:31], v[59:60]
	v_fma_f64 v[71:72], v[71:72], s[16:17], -v[69:70]
	v_fma_f64 v[77:78], v[87:88], s[16:17], -v[85:86]
	v_fma_f64 v[69:70], v[75:76], s[6:7], v[69:70]
	v_fma_f64 v[63:64], v[67:68], s[28:29], v[63:64]
	v_fma_f64 v[75:76], v[81:82], s[6:7], v[85:86]
	v_fma_f64 v[67:68], v[67:68], s[20:21], v[91:92]
	v_fma_f64 v[81:82], v[65:66], s[20:21], v[83:84]
	v_fma_f64 v[61:62], v[65:66], s[28:29], v[61:62]
	v_fma_f64 v[89:90], v[95:96], s[26:27], v[97:98]
	v_fma_f64 v[97:98], v[101:102], s[26:27], v[103:104]
	v_add_f64 v[85:86], v[77:78], v[79:80]
	v_fma_f64 v[77:78], v[101:102], s[26:27], v[63:64]
	v_add_f64 v[87:88], v[69:70], v[73:74]
	v_add_f64 v[91:92], v[75:76], v[79:80]
	v_fma_f64 v[101:102], v[101:102], s[26:27], v[67:68]
	v_fma_f64 v[103:104], v[95:96], s[26:27], v[81:82]
	v_add_f64 v[93:94], v[93:94], v[79:80]
	v_add_f64 v[83:84], v[71:72], v[73:74]
	v_fma_f64 v[79:80], v[95:96], s[26:27], v[61:62]
	v_add_f64 v[99:100], v[99:100], v[73:74]
	s_mov_b32 s23, 0x3fe11646
	s_mov_b32 s27, 0xbfdc38aa
	v_add_f64 v[73:74], v[101:102], v[87:88]
	v_add_f64 v[75:76], v[91:92], -v[103:104]
	v_add_f64 v[63:64], v[89:90], v[93:94]
	v_add_f64 v[69:70], v[77:78], v[83:84]
	v_add_f64 v[71:72], v[85:86], -v[79:80]
	v_add_f64 v[61:62], v[99:100], -v[97:98]
	v_add_f64 v[65:66], v[97:98], v[99:100]
	v_add_f64 v[67:68], v[93:94], -v[89:90]
	v_add_f64 v[77:78], v[83:84], -v[77:78]
	v_add_f64 v[79:80], v[79:80], v[85:86]
	v_add_f64 v[81:82], v[87:88], -v[101:102]
	v_add_f64 v[83:84], v[103:104], v[91:92]
	ds_write_b128 v54, v[57:60]
	ds_write_b128 v54, v[73:76] offset:112
	ds_write_b128 v54, v[69:72] offset:224
	;; [unrolled: 1-line block ×6, first 2 shown]
	s_waitcnt lgkmcnt(0)
	; wave barrier
	s_waitcnt lgkmcnt(0)
	global_load_dwordx4 v[57:60], v55, s[8:9] offset:784
	global_load_dwordx4 v[61:64], v55, s[34:35] offset:112
	;; [unrolled: 1-line block ×7, first 2 shown]
	ds_read_b128 v[85:88], v54
	ds_read_b128 v[89:92], v54 offset:112
	ds_read_b128 v[93:96], v54 offset:224
	;; [unrolled: 1-line block ×6, first 2 shown]
	s_waitcnt vmcnt(6) lgkmcnt(6)
	v_mul_f64 v[113:114], v[87:88], v[59:60]
	v_mul_f64 v[59:60], v[85:86], v[59:60]
	s_waitcnt vmcnt(5) lgkmcnt(5)
	v_mul_f64 v[115:116], v[91:92], v[63:64]
	v_mul_f64 v[63:64], v[89:90], v[63:64]
	;; [unrolled: 3-line block ×3, first 2 shown]
	v_fma_f64 v[85:86], v[85:86], v[57:58], -v[113:114]
	v_mul_f64 v[113:114], v[95:96], v[67:68]
	v_mul_f64 v[67:68], v[93:94], v[67:68]
	v_fma_f64 v[87:88], v[87:88], v[57:58], v[59:60]
	v_fma_f64 v[57:58], v[89:90], v[61:62], -v[115:116]
	s_waitcnt vmcnt(2) lgkmcnt(2)
	v_mul_f64 v[89:90], v[103:104], v[75:76]
	v_mul_f64 v[75:76], v[101:102], v[75:76]
	v_fma_f64 v[59:60], v[91:92], v[61:62], v[63:64]
	s_waitcnt vmcnt(1) lgkmcnt(1)
	v_mul_f64 v[91:92], v[107:108], v[79:80]
	v_mul_f64 v[79:80], v[105:106], v[79:80]
	v_fma_f64 v[61:62], v[93:94], v[65:66], -v[113:114]
	s_waitcnt vmcnt(0) lgkmcnt(0)
	v_mul_f64 v[93:94], v[111:112], v[83:84]
	v_mul_f64 v[83:84], v[109:110], v[83:84]
	v_fma_f64 v[63:64], v[95:96], v[65:66], v[67:68]
	v_fma_f64 v[65:66], v[97:98], v[69:70], -v[117:118]
	v_fma_f64 v[67:68], v[99:100], v[69:70], v[71:72]
	v_fma_f64 v[69:70], v[101:102], v[73:74], -v[89:90]
	;; [unrolled: 2-line block ×4, first 2 shown]
	v_fma_f64 v[79:80], v[111:112], v[81:82], v[83:84]
	ds_write_b128 v54, v[85:88]
	ds_write_b128 v54, v[57:60] offset:112
	ds_write_b128 v54, v[61:64] offset:224
	;; [unrolled: 1-line block ×6, first 2 shown]
	s_waitcnt lgkmcnt(0)
	; wave barrier
	s_waitcnt lgkmcnt(0)
	ds_read_b128 v[57:60], v54 offset:112
	ds_read_b128 v[61:64], v54 offset:672
	;; [unrolled: 1-line block ×6, first 2 shown]
	ds_read_b128 v[81:84], v54
	s_waitcnt lgkmcnt(5)
	v_add_f64 v[87:88], v[59:60], v[63:64]
	v_add_f64 v[63:64], v[59:60], -v[63:64]
	s_waitcnt lgkmcnt(2)
	v_add_f64 v[59:60], v[67:68], v[75:76]
	v_add_f64 v[85:86], v[57:58], v[61:62]
	v_add_f64 v[61:62], v[57:58], -v[61:62]
	v_add_f64 v[57:58], v[65:66], v[73:74]
	v_add_f64 v[65:66], v[65:66], -v[73:74]
	s_waitcnt lgkmcnt(1)
	v_add_f64 v[73:74], v[69:70], v[77:78]
	v_add_f64 v[67:68], v[67:68], -v[75:76]
	v_add_f64 v[75:76], v[71:72], v[79:80]
	v_add_f64 v[69:70], v[77:78], -v[69:70]
	v_add_f64 v[71:72], v[79:80], -v[71:72]
	v_add_f64 v[79:80], v[59:60], v[87:88]
	v_add_f64 v[77:78], v[57:58], v[85:86]
	v_add_f64 v[89:90], v[57:58], -v[85:86]
	v_add_f64 v[91:92], v[73:74], -v[57:58]
	;; [unrolled: 1-line block ×6, first 2 shown]
	v_add_f64 v[79:80], v[75:76], v[79:80]
	v_add_f64 v[57:58], v[69:70], v[65:66]
	v_add_f64 v[65:66], v[65:66], -v[61:62]
	v_add_f64 v[77:78], v[73:74], v[77:78]
	v_add_f64 v[99:100], v[71:72], v[67:68]
	v_add_f64 v[67:68], v[67:68], -v[63:64]
	v_add_f64 v[73:74], v[85:86], -v[73:74]
	;; [unrolled: 1-line block ×3, first 2 shown]
	s_waitcnt lgkmcnt(0)
	v_add_f64 v[59:60], v[83:84], v[79:80]
	v_mul_f64 v[83:84], v[97:98], s[22:23]
	v_mul_f64 v[97:98], v[101:102], s[22:23]
	;; [unrolled: 1-line block ×3, first 2 shown]
	v_add_f64 v[105:106], v[57:58], v[61:62]
	v_mul_f64 v[107:108], v[95:96], s[6:7]
	v_add_f64 v[57:58], v[81:82], v[77:78]
	v_add_f64 v[81:82], v[99:100], v[63:64]
	v_add_f64 v[61:62], v[61:62], -v[69:70]
	v_fma_f64 v[85:86], v[65:66], s[18:19], -v[83:84]
	v_fma_f64 v[87:88], v[67:68], s[18:19], -v[97:98]
	v_add_f64 v[63:64], v[63:64], -v[71:72]
	v_mul_f64 v[69:70], v[73:74], s[12:13]
	v_mul_f64 v[71:72], v[75:76], s[12:13]
	;; [unrolled: 1-line block ×4, first 2 shown]
	v_fma_f64 v[99:100], v[89:90], s[14:15], -v[103:104]
	v_fma_f64 v[101:102], v[93:94], s[14:15], -v[107:108]
	v_fma_f64 v[77:78], v[77:78], s[30:31], v[57:58]
	v_fma_f64 v[79:80], v[79:80], s[30:31], v[59:60]
	v_fma_f64 v[89:90], v[89:90], s[16:17], -v[69:70]
	v_fma_f64 v[93:94], v[93:94], s[16:17], -v[71:72]
	v_fma_f64 v[67:68], v[63:64], s[20:21], v[67:68]
	v_fma_f64 v[65:66], v[61:62], s[20:21], v[65:66]
	;; [unrolled: 1-line block ×8, first 2 shown]
	v_add_f64 v[85:86], v[99:100], v[77:78]
	v_add_f64 v[87:88], v[101:102], v[79:80]
	v_fma_f64 v[91:92], v[81:82], s[26:27], v[67:68]
	v_add_f64 v[95:96], v[69:70], v[77:78]
	v_add_f64 v[97:98], v[71:72], v[79:80]
	v_fma_f64 v[81:82], v[81:82], s[26:27], v[63:64]
	v_fma_f64 v[99:100], v[105:106], s[26:27], v[61:62]
	v_add_f64 v[83:84], v[89:90], v[77:78]
	v_add_f64 v[89:90], v[93:94], v[79:80]
	v_fma_f64 v[93:94], v[105:106], s[26:27], v[65:66]
	v_add_f64 v[61:62], v[85:86], -v[75:76]
	v_add_f64 v[63:64], v[73:74], v[87:88]
	v_add_f64 v[65:66], v[85:86], v[75:76]
	v_add_f64 v[67:68], v[87:88], -v[73:74]
	v_add_f64 v[73:74], v[95:96], v[81:82]
	v_add_f64 v[75:76], v[97:98], -v[99:100]
	;; [unrolled: 2-line block ×3, first 2 shown]
	v_add_f64 v[77:78], v[83:84], -v[91:92]
	v_add_f64 v[79:80], v[93:94], v[89:90]
	v_add_f64 v[81:82], v[95:96], -v[81:82]
	v_add_f64 v[83:84], v[99:100], v[97:98]
	s_waitcnt lgkmcnt(0)
	; wave barrier
	ds_write_b128 v56, v[57:60]
	ds_write_b128 v56, v[73:76] offset:16
	ds_write_b128 v56, v[69:72] offset:32
	;; [unrolled: 1-line block ×6, first 2 shown]
	s_waitcnt lgkmcnt(0)
	; wave barrier
	s_waitcnt lgkmcnt(0)
	ds_read_b128 v[55:58], v54 offset:112
	ds_read_b128 v[59:62], v54 offset:224
	ds_read_b128 v[63:66], v54
	ds_read_b128 v[71:74], v54 offset:672
	ds_read_b128 v[67:70], v54 offset:336
	s_waitcnt lgkmcnt(4)
	v_mul_f64 v[75:76], v[38:39], v[57:58]
	v_mul_f64 v[38:39], v[38:39], v[55:56]
	s_waitcnt lgkmcnt(3)
	v_mul_f64 v[77:78], v[34:35], v[61:62]
	v_mul_f64 v[79:80], v[34:35], v[59:60]
	v_fma_f64 v[75:76], v[36:37], v[55:56], v[75:76]
	v_fma_f64 v[38:39], v[36:37], v[57:58], -v[38:39]
	ds_read_b128 v[55:58], v54 offset:448
	ds_read_b128 v[34:37], v54 offset:560
	s_waitcnt lgkmcnt(3)
	v_mul_f64 v[81:82], v[50:51], v[73:74]
	v_fma_f64 v[59:60], v[32:33], v[59:60], v[77:78]
	v_fma_f64 v[32:33], v[32:33], v[61:62], -v[79:80]
	v_mul_f64 v[50:51], v[50:51], v[71:72]
	s_waitcnt lgkmcnt(0)
	v_mul_f64 v[61:62], v[42:43], v[36:37]
	v_mul_f64 v[42:43], v[42:43], v[34:35]
	;; [unrolled: 1-line block ×6, first 2 shown]
	v_fma_f64 v[71:72], v[48:49], v[71:72], v[81:82]
	v_fma_f64 v[48:49], v[48:49], v[73:74], -v[50:51]
	v_fma_f64 v[34:35], v[40:41], v[34:35], v[61:62]
	v_fma_f64 v[36:37], v[40:41], v[36:37], -v[42:43]
	;; [unrolled: 2-line block ×4, first 2 shown]
	v_add_f64 v[44:45], v[75:76], v[71:72]
	v_add_f64 v[46:47], v[38:39], v[48:49]
	;; [unrolled: 1-line block ×4, first 2 shown]
	v_add_f64 v[38:39], v[38:39], -v[48:49]
	v_add_f64 v[34:35], v[59:60], -v[34:35]
	v_add_f64 v[48:49], v[40:41], v[30:31]
	v_add_f64 v[61:62], v[28:29], v[42:43]
	v_add_f64 v[32:33], v[32:33], -v[36:37]
	v_add_f64 v[36:37], v[30:31], -v[40:41]
	v_add_f64 v[67:68], v[50:51], v[44:45]
	v_add_f64 v[69:70], v[55:56], v[46:47]
	v_add_f64 v[40:41], v[42:43], -v[28:29]
	v_add_f64 v[57:58], v[75:76], -v[71:72]
	v_add_f64 v[42:43], v[50:51], -v[44:45]
	v_add_f64 v[59:60], v[55:56], -v[46:47]
	v_add_f64 v[44:45], v[44:45], -v[48:49]
	v_add_f64 v[46:47], v[46:47], -v[61:62]
	v_add_f64 v[67:68], v[48:49], v[67:68]
	v_add_f64 v[69:70], v[61:62], v[69:70]
	v_add_f64 v[48:49], v[48:49], -v[50:51]
	v_add_f64 v[50:51], v[61:62], -v[55:56]
	v_add_f64 v[55:56], v[36:37], v[34:35]
	v_add_f64 v[61:62], v[40:41], v[32:33]
	v_mul_f64 v[44:45], v[44:45], s[12:13]
	v_mul_f64 v[46:47], v[46:47], s[12:13]
	v_add_f64 v[28:29], v[63:64], v[67:68]
	v_add_f64 v[30:31], v[65:66], v[69:70]
	v_add_f64 v[63:64], v[36:37], -v[34:35]
	v_add_f64 v[65:66], v[40:41], -v[32:33]
	;; [unrolled: 1-line block ×5, first 2 shown]
	v_add_f64 v[55:56], v[55:56], v[57:58]
	v_mul_f64 v[57:58], v[48:49], s[6:7]
	v_add_f64 v[32:33], v[32:33], -v[38:39]
	v_add_f64 v[38:39], v[61:62], v[38:39]
	v_mul_f64 v[61:62], v[50:51], s[6:7]
	v_mul_f64 v[63:64], v[63:64], s[22:23]
	;; [unrolled: 1-line block ×3, first 2 shown]
	v_fma_f64 v[48:49], v[48:49], s[6:7], v[44:45]
	v_fma_f64 v[50:51], v[50:51], s[6:7], v[46:47]
	v_fma_f64 v[57:58], v[42:43], s[14:15], -v[57:58]
	v_fma_f64 v[42:43], v[42:43], s[16:17], -v[44:45]
	v_mul_f64 v[44:45], v[34:35], s[24:25]
	v_fma_f64 v[61:62], v[59:60], s[14:15], -v[61:62]
	v_fma_f64 v[46:47], v[59:60], s[16:17], -v[46:47]
	v_mul_f64 v[59:60], v[32:33], s[24:25]
	v_fma_f64 v[67:68], v[67:68], s[30:31], v[28:29]
	v_fma_f64 v[69:70], v[69:70], s[30:31], v[30:31]
	v_fma_f64 v[34:35], v[34:35], s[18:19], -v[63:64]
	v_fma_f64 v[63:64], v[36:37], s[28:29], v[63:64]
	v_fma_f64 v[32:33], v[32:33], s[18:19], -v[65:66]
	v_fma_f64 v[65:66], v[40:41], s[28:29], v[65:66]
	v_fma_f64 v[36:37], v[36:37], s[20:21], v[44:45]
	;; [unrolled: 1-line block ×3, first 2 shown]
	v_add_f64 v[59:60], v[48:49], v[67:68]
	v_add_f64 v[71:72], v[50:51], v[69:70]
	;; [unrolled: 1-line block ×3, first 2 shown]
	v_fma_f64 v[63:64], v[55:56], s[26:27], v[63:64]
	v_add_f64 v[44:45], v[57:58], v[67:68]
	v_fma_f64 v[61:62], v[38:39], s[26:27], v[65:66]
	v_add_f64 v[50:51], v[42:43], v[67:68]
	v_add_f64 v[57:58], v[46:47], v[69:70]
	v_fma_f64 v[65:66], v[38:39], s[26:27], v[40:41]
	v_fma_f64 v[67:68], v[55:56], s[26:27], v[36:37]
	v_fma_f64 v[46:47], v[38:39], s[26:27], v[32:33]
	v_fma_f64 v[55:56], v[55:56], s[26:27], v[34:35]
	v_add_f64 v[34:35], v[71:72], -v[63:64]
	v_add_f64 v[32:33], v[61:62], v[59:60]
	v_add_f64 v[36:37], v[65:66], v[50:51]
	v_add_f64 v[38:39], v[57:58], -v[67:68]
	v_add_f64 v[40:41], v[44:45], -v[46:47]
	v_add_f64 v[42:43], v[55:56], v[48:49]
	v_add_f64 v[44:45], v[46:47], v[44:45]
	v_add_f64 v[46:47], v[48:49], -v[55:56]
	v_add_f64 v[48:49], v[50:51], -v[65:66]
	v_add_f64 v[50:51], v[67:68], v[57:58]
	v_add_f64 v[55:56], v[59:60], -v[61:62]
	v_add_f64 v[57:58], v[63:64], v[71:72]
	ds_write_b128 v54, v[28:31]
	ds_write_b128 v54, v[32:35] offset:112
	ds_write_b128 v54, v[36:39] offset:224
	;; [unrolled: 1-line block ×6, first 2 shown]
	s_waitcnt lgkmcnt(0)
	; wave barrier
	s_waitcnt lgkmcnt(0)
	ds_read_b128 v[28:31], v54
	ds_read_b128 v[32:35], v54 offset:112
	v_mad_u64_u32 v[36:37], s[6:7], s2, v52, 0
	s_waitcnt lgkmcnt(1)
	v_mul_f64 v[38:39], v[26:27], v[30:31]
	v_mul_f64 v[26:27], v[26:27], v[28:29]
	v_mad_u64_u32 v[40:41], s[2:3], s3, v52, v[37:38]
	v_mad_u64_u32 v[41:42], s[2:3], s0, v53, 0
	v_fma_f64 v[28:29], v[24:25], v[28:29], v[38:39]
	v_fma_f64 v[26:27], v[24:25], v[30:31], -v[26:27]
	v_mov_b32_e32 v24, v42
	v_mad_u64_u32 v[30:31], s[2:3], s1, v53, v[24:25]
	s_mov_b32 s2, 0xa72f0539
	s_mov_b32 s3, 0x3f94e5e0
	v_mov_b32_e32 v42, v30
	s_waitcnt lgkmcnt(0)
	v_mul_f64 v[30:31], v[14:15], v[34:35]
	v_mul_f64 v[14:15], v[14:15], v[32:33]
	v_mov_b32_e32 v37, v40
	v_mul_f64 v[24:25], v[28:29], s[2:3]
	v_mul_f64 v[26:27], v[26:27], s[2:3]
	v_lshlrev_b64 v[28:29], 4, v[36:37]
	v_mov_b32_e32 v36, s5
	v_add_co_u32_e32 v37, vcc, s4, v28
	v_fma_f64 v[30:31], v[12:13], v[32:33], v[30:31]
	v_fma_f64 v[32:33], v[12:13], v[34:35], -v[14:15]
	ds_read_b128 v[12:15], v54 offset:224
	v_addc_co_u32_e32 v36, vcc, v36, v29, vcc
	v_lshlrev_b64 v[28:29], 4, v[41:42]
	s_mulk_i32 s1, 0x70
	v_add_co_u32_e32 v34, vcc, v37, v28
	v_addc_co_u32_e32 v35, vcc, v36, v29, vcc
	global_store_dwordx4 v[34:35], v[24:27], off
	s_mul_hi_u32 s4, s0, 0x70
	v_mul_f64 v[24:25], v[30:31], s[2:3]
	ds_read_b128 v[28:31], v54 offset:336
	s_waitcnt lgkmcnt(1)
	v_mul_f64 v[36:37], v[18:19], v[14:15]
	v_mul_f64 v[18:19], v[18:19], v[12:13]
	;; [unrolled: 1-line block ×3, first 2 shown]
	s_add_i32 s1, s4, s1
	s_waitcnt lgkmcnt(0)
	v_mul_f64 v[32:33], v[6:7], v[30:31]
	v_mul_f64 v[6:7], v[6:7], v[28:29]
	s_mulk_i32 s0, 0x70
	v_mov_b32_e32 v38, s1
	v_fma_f64 v[12:13], v[16:17], v[12:13], v[36:37]
	v_fma_f64 v[14:15], v[16:17], v[14:15], -v[18:19]
	ds_read_b128 v[16:19], v54 offset:448
	v_add_co_u32_e32 v34, vcc, s0, v34
	v_addc_co_u32_e32 v35, vcc, v35, v38, vcc
	global_store_dwordx4 v[34:35], v[24:27], off
	v_mul_f64 v[12:13], v[12:13], s[2:3]
	v_mul_f64 v[14:15], v[14:15], s[2:3]
	v_fma_f64 v[24:25], v[4:5], v[28:29], v[32:33]
	v_fma_f64 v[26:27], v[4:5], v[30:31], -v[6:7]
	ds_read_b128 v[4:7], v54 offset:560
	s_waitcnt lgkmcnt(1)
	v_mul_f64 v[28:29], v[22:23], v[18:19]
	v_mul_f64 v[22:23], v[22:23], v[16:17]
	v_mov_b32_e32 v36, s1
	v_add_co_u32_e32 v30, vcc, s0, v34
	v_addc_co_u32_e32 v31, vcc, v35, v36, vcc
	global_store_dwordx4 v[30:31], v[12:15], off
	s_nop 0
	v_mul_f64 v[12:13], v[24:25], s[2:3]
	v_fma_f64 v[24:25], v[20:21], v[16:17], v[28:29]
	v_fma_f64 v[20:21], v[20:21], v[18:19], -v[22:23]
	ds_read_b128 v[16:19], v54 offset:672
	v_mul_f64 v[14:15], v[26:27], s[2:3]
	v_mov_b32_e32 v26, s1
	v_add_co_u32_e32 v22, vcc, s0, v30
	v_addc_co_u32_e32 v23, vcc, v31, v26, vcc
	s_waitcnt lgkmcnt(1)
	v_mul_f64 v[26:27], v[2:3], v[6:7]
	v_mul_f64 v[2:3], v[2:3], v[4:5]
	s_waitcnt lgkmcnt(0)
	v_mul_f64 v[28:29], v[10:11], v[18:19]
	v_mul_f64 v[30:31], v[10:11], v[16:17]
	global_store_dwordx4 v[22:23], v[12:15], off
	v_mul_f64 v[10:11], v[24:25], s[2:3]
	v_mul_f64 v[12:13], v[20:21], s[2:3]
	v_mov_b32_e32 v15, s1
	v_fma_f64 v[4:5], v[0:1], v[4:5], v[26:27]
	v_fma_f64 v[2:3], v[0:1], v[6:7], -v[2:3]
	v_fma_f64 v[6:7], v[8:9], v[16:17], v[28:29]
	v_fma_f64 v[8:9], v[8:9], v[18:19], -v[30:31]
	v_add_co_u32_e32 v14, vcc, s0, v22
	v_addc_co_u32_e32 v15, vcc, v23, v15, vcc
	v_mul_f64 v[0:1], v[4:5], s[2:3]
	v_mul_f64 v[2:3], v[2:3], s[2:3]
	;; [unrolled: 1-line block ×4, first 2 shown]
	global_store_dwordx4 v[14:15], v[10:13], off
	v_add_co_u32_e32 v8, vcc, s0, v14
	v_mov_b32_e32 v10, s1
	v_addc_co_u32_e32 v9, vcc, v15, v10, vcc
	global_store_dwordx4 v[8:9], v[0:3], off
	s_nop 0
	v_mov_b32_e32 v1, s1
	v_add_co_u32_e32 v0, vcc, s0, v8
	v_addc_co_u32_e32 v1, vcc, v9, v1, vcc
	global_store_dwordx4 v[0:1], v[4:7], off
.LBB0_2:
	s_endpgm
	.section	.rodata,"a",@progbits
	.p2align	6, 0x0
	.amdhsa_kernel bluestein_single_back_len49_dim1_dp_op_CI_CI
		.amdhsa_group_segment_fixed_size 7056
		.amdhsa_private_segment_fixed_size 0
		.amdhsa_kernarg_size 104
		.amdhsa_user_sgpr_count 6
		.amdhsa_user_sgpr_private_segment_buffer 1
		.amdhsa_user_sgpr_dispatch_ptr 0
		.amdhsa_user_sgpr_queue_ptr 0
		.amdhsa_user_sgpr_kernarg_segment_ptr 1
		.amdhsa_user_sgpr_dispatch_id 0
		.amdhsa_user_sgpr_flat_scratch_init 0
		.amdhsa_user_sgpr_private_segment_size 0
		.amdhsa_uses_dynamic_stack 0
		.amdhsa_system_sgpr_private_segment_wavefront_offset 0
		.amdhsa_system_sgpr_workgroup_id_x 1
		.amdhsa_system_sgpr_workgroup_id_y 0
		.amdhsa_system_sgpr_workgroup_id_z 0
		.amdhsa_system_sgpr_workgroup_info 0
		.amdhsa_system_vgpr_workitem_id 0
		.amdhsa_next_free_vgpr 119
		.amdhsa_next_free_sgpr 36
		.amdhsa_reserve_vcc 1
		.amdhsa_reserve_flat_scratch 0
		.amdhsa_float_round_mode_32 0
		.amdhsa_float_round_mode_16_64 0
		.amdhsa_float_denorm_mode_32 3
		.amdhsa_float_denorm_mode_16_64 3
		.amdhsa_dx10_clamp 1
		.amdhsa_ieee_mode 1
		.amdhsa_fp16_overflow 0
		.amdhsa_exception_fp_ieee_invalid_op 0
		.amdhsa_exception_fp_denorm_src 0
		.amdhsa_exception_fp_ieee_div_zero 0
		.amdhsa_exception_fp_ieee_overflow 0
		.amdhsa_exception_fp_ieee_underflow 0
		.amdhsa_exception_fp_ieee_inexact 0
		.amdhsa_exception_int_div_zero 0
	.end_amdhsa_kernel
	.text
.Lfunc_end0:
	.size	bluestein_single_back_len49_dim1_dp_op_CI_CI, .Lfunc_end0-bluestein_single_back_len49_dim1_dp_op_CI_CI
                                        ; -- End function
	.section	.AMDGPU.csdata,"",@progbits
; Kernel info:
; codeLenInByte = 5616
; NumSgprs: 40
; NumVgprs: 119
; ScratchSize: 0
; MemoryBound: 0
; FloatMode: 240
; IeeeMode: 1
; LDSByteSize: 7056 bytes/workgroup (compile time only)
; SGPRBlocks: 4
; VGPRBlocks: 29
; NumSGPRsForWavesPerEU: 40
; NumVGPRsForWavesPerEU: 119
; Occupancy: 2
; WaveLimiterHint : 1
; COMPUTE_PGM_RSRC2:SCRATCH_EN: 0
; COMPUTE_PGM_RSRC2:USER_SGPR: 6
; COMPUTE_PGM_RSRC2:TRAP_HANDLER: 0
; COMPUTE_PGM_RSRC2:TGID_X_EN: 1
; COMPUTE_PGM_RSRC2:TGID_Y_EN: 0
; COMPUTE_PGM_RSRC2:TGID_Z_EN: 0
; COMPUTE_PGM_RSRC2:TIDIG_COMP_CNT: 0
	.type	__hip_cuid_26c77225d5643708,@object ; @__hip_cuid_26c77225d5643708
	.section	.bss,"aw",@nobits
	.globl	__hip_cuid_26c77225d5643708
__hip_cuid_26c77225d5643708:
	.byte	0                               ; 0x0
	.size	__hip_cuid_26c77225d5643708, 1

	.ident	"AMD clang version 19.0.0git (https://github.com/RadeonOpenCompute/llvm-project roc-6.4.0 25133 c7fe45cf4b819c5991fe208aaa96edf142730f1d)"
	.section	".note.GNU-stack","",@progbits
	.addrsig
	.addrsig_sym __hip_cuid_26c77225d5643708
	.amdgpu_metadata
---
amdhsa.kernels:
  - .args:
      - .actual_access:  read_only
        .address_space:  global
        .offset:         0
        .size:           8
        .value_kind:     global_buffer
      - .actual_access:  read_only
        .address_space:  global
        .offset:         8
        .size:           8
        .value_kind:     global_buffer
      - .actual_access:  read_only
        .address_space:  global
        .offset:         16
        .size:           8
        .value_kind:     global_buffer
      - .actual_access:  read_only
        .address_space:  global
        .offset:         24
        .size:           8
        .value_kind:     global_buffer
      - .actual_access:  read_only
        .address_space:  global
        .offset:         32
        .size:           8
        .value_kind:     global_buffer
      - .offset:         40
        .size:           8
        .value_kind:     by_value
      - .address_space:  global
        .offset:         48
        .size:           8
        .value_kind:     global_buffer
      - .address_space:  global
        .offset:         56
        .size:           8
        .value_kind:     global_buffer
      - .address_space:  global
        .offset:         64
        .size:           8
        .value_kind:     global_buffer
      - .address_space:  global
        .offset:         72
        .size:           8
        .value_kind:     global_buffer
      - .offset:         80
        .size:           4
        .value_kind:     by_value
      - .address_space:  global
        .offset:         88
        .size:           8
        .value_kind:     global_buffer
      - .address_space:  global
        .offset:         96
        .size:           8
        .value_kind:     global_buffer
    .group_segment_fixed_size: 7056
    .kernarg_segment_align: 8
    .kernarg_segment_size: 104
    .language:       OpenCL C
    .language_version:
      - 2
      - 0
    .max_flat_workgroup_size: 63
    .name:           bluestein_single_back_len49_dim1_dp_op_CI_CI
    .private_segment_fixed_size: 0
    .sgpr_count:     40
    .sgpr_spill_count: 0
    .symbol:         bluestein_single_back_len49_dim1_dp_op_CI_CI.kd
    .uniform_work_group_size: 1
    .uses_dynamic_stack: false
    .vgpr_count:     119
    .vgpr_spill_count: 0
    .wavefront_size: 64
amdhsa.target:   amdgcn-amd-amdhsa--gfx906
amdhsa.version:
  - 1
  - 2
...

	.end_amdgpu_metadata
